;; amdgpu-corpus repo=ROCm/bitsandbytes kind=harvested arch=n/a opt=n/a
	.text
	.amdgcn_target "amdgcn-amd-amdhsa--gfx942"
	.amdhsa_code_object_version 6
	.protected	_Z20kDequantizeBlockwiseIfLi512ELi64ELi8ELi0EEvPfPhS0_PT_ii ; -- Begin function _Z20kDequantizeBlockwiseIfLi512ELi64ELi8ELi0EEvPfPhS0_PT_ii
	.globl	_Z20kDequantizeBlockwiseIfLi512ELi64ELi8ELi0EEvPfPhS0_PT_ii
	.p2align	8
	.type	_Z20kDequantizeBlockwiseIfLi512ELi64ELi8ELi0EEvPfPhS0_PT_ii,@function
_Z20kDequantizeBlockwiseIfLi512ELi64ELi8ELi0EEvPfPhS0_PT_ii: ; @_Z20kDequantizeBlockwiseIfLi512ELi64ELi8ELi0EEvPfPhS0_PT_ii
; %bb.0:
	s_load_dword s3, s[0:1], 0x28
	s_lshl_b32 s14, s2, 9
	s_waitcnt lgkmcnt(0)
	s_lshl_b32 s24, s3, 9
	s_cmp_ge_i32 s14, s24
	s_cbranch_scc1 .LBB157_35
; %bb.1:
	s_load_dwordx2 s[2:3], s[0:1], 0x20
	s_load_dwordx8 s[16:23], s[0:1], 0x0
	v_lshlrev_b32_e32 v8, 3, v0
	v_mbcnt_lo_u32_b32 v1, -1, 0
	v_mbcnt_hi_u32_b32 v2, -1, v1
	v_and_b32_e32 v6, 0x1e00, v8
	v_mov_b32_e32 v3, 0
	v_or_b32_e32 v9, v2, v6
	v_and_b32_e32 v0, 0x3c0, v0
	s_waitcnt lgkmcnt(0)
	v_lshl_add_u64 v[4:5], s[18:19], 0, v[2:3]
	v_mov_b32_e32 v7, v3
	v_lshrrev_b32_e32 v1, 5, v9
	v_add_u32_e32 v0, v2, v0
	v_lshl_add_u64 v[4:5], v[4:5], 0, v[6:7]
	v_add_u32_e32 v10, 64, v9
	v_or_b32_e32 v11, 0x80, v9
	v_add_u32_e32 v12, 0xc0, v9
	v_or_b32_e32 v13, 0x100, v9
	;; [unrolled: 2-line block ×3, first 2 shown]
	v_add_u32_e32 v16, 0x1c0, v9
	v_and_b32_e32 v7, 0xf0, v1
	v_lshlrev_b32_e32 v26, 3, v0
	v_bfe_u32 v0, v0, 2, 27
	s_flbit_i32_b32 s0, s2
	v_add_u32_e32 v17, v7, v9
	v_lshrrev_b32_e32 v7, 5, v10
	v_lshrrev_b32_e32 v29, 5, v11
	;; [unrolled: 1-line block ×7, first 2 shown]
	v_and_b32_e32 v25, 0x1fc, v0
	v_lshlrev_b32_e32 v2, 2, v2
	s_min_u32 s0, s0, 32
	v_and_b32_e32 v18, 0xf4, v7
	v_and_b32_e32 v19, 0xf4, v29
	;; [unrolled: 1-line block ×7, first 2 shown]
	v_add_u32_e32 v25, v25, v26
	v_add_lshl_u32 v26, v0, v26, 2
	v_add_lshl_u32 v27, v1, v9, 2
	v_lshl_add_u64 v[0:1], s[22:23], 0, v[2:3]
	v_lshlrev_b32_e32 v2, 2, v6
	s_sub_i32 s25, 31, s0
	v_add_u32_e32 v18, v18, v10
	v_add_u32_e32 v19, v19, v11
	;; [unrolled: 1-line block ×7, first 2 shown]
	v_add_lshl_u32 v28, v7, v10, 2
	v_add_lshl_u32 v29, v29, v11, 2
	v_add_lshl_u32 v30, v30, v12, 2
	v_add_lshl_u32 v31, v31, v13, 2
	v_add_lshl_u32 v32, v32, v14, 2
	v_add_lshl_u32 v33, v33, v15, 2
	v_add_lshl_u32 v34, v34, v16, 2
	v_lshl_add_u64 v[0:1], v[0:1], 0, v[2:3]
	s_sub_i32 s22, s3, s14
	v_mov_b32_e32 v35, 2
	s_branch .LBB157_3
.LBB157_2:                              ;   in Loop: Header=BB157_3 Depth=1
	s_or_b64 exec, exec, s[0:1]
	s_add_i32 s14, s14, s24
	s_sub_i32 s22, s22, s24
	s_cmp_ge_i32 s14, s24
	s_cbranch_scc1 .LBB157_35
.LBB157_3:                              ; =>This Inner Loop Header: Depth=1
	s_waitcnt lgkmcnt(0)
	v_add_u32_e32 v2, s14, v8
	v_lshrrev_b32_e32 v2, s25, v2
	v_lshl_add_u64 v[6:7], v[2:3], 2, s[20:21]
	global_load_dword v2, v[6:7], off
	s_min_i32 s18, s22, 0x200
	s_ashr_i32 s15, s14, 31
	v_lshl_add_u64 v[6:7], v[4:5], 0, s[14:15]
	v_cmp_gt_u32_e32 vcc, s18, v9
	v_mov_b32_e32 v36, 0x80
	v_mov_b32_e32 v37, 0x80
	;; [unrolled: 1-line block ×7, first 2 shown]
	s_barrier
	s_and_saveexec_b64 s[0:1], vcc
	s_cbranch_execz .LBB157_5
; %bb.4:                                ;   in Loop: Header=BB157_3 Depth=1
	global_load_ubyte v37, v[6:7], off
	v_mov_b32_e32 v36, 0x80
	v_mov_b32_e32 v38, 0x80
	;; [unrolled: 1-line block ×6, first 2 shown]
.LBB157_5:                              ;   in Loop: Header=BB157_3 Depth=1
	s_or_b64 exec, exec, s[0:1]
	v_cmp_gt_u32_e64 s[0:1], s18, v10
	v_mov_b32_e32 v43, v36
	s_and_saveexec_b64 s[2:3], s[0:1]
	s_cbranch_execnz .LBB157_21
; %bb.6:                                ;   in Loop: Header=BB157_3 Depth=1
	s_or_b64 exec, exec, s[2:3]
	v_cmp_gt_u32_e64 s[2:3], s18, v11
	s_and_saveexec_b64 s[4:5], s[2:3]
	s_cbranch_execnz .LBB157_22
.LBB157_7:                              ;   in Loop: Header=BB157_3 Depth=1
	s_or_b64 exec, exec, s[4:5]
	v_cmp_gt_u32_e64 s[4:5], s18, v12
	s_and_saveexec_b64 s[6:7], s[4:5]
	s_cbranch_execnz .LBB157_23
.LBB157_8:                              ;   in Loop: Header=BB157_3 Depth=1
	s_or_b64 exec, exec, s[6:7]
	v_cmp_gt_u32_e64 s[6:7], s18, v13
	s_and_saveexec_b64 s[8:9], s[6:7]
	s_cbranch_execnz .LBB157_24
.LBB157_9:                              ;   in Loop: Header=BB157_3 Depth=1
	s_or_b64 exec, exec, s[8:9]
	v_cmp_gt_u32_e64 s[8:9], s18, v14
	s_and_saveexec_b64 s[10:11], s[8:9]
	s_cbranch_execnz .LBB157_25
.LBB157_10:                             ;   in Loop: Header=BB157_3 Depth=1
	s_or_b64 exec, exec, s[10:11]
	v_cmp_gt_u32_e64 s[10:11], s18, v15
	s_and_saveexec_b64 s[12:13], s[10:11]
	s_cbranch_execnz .LBB157_26
.LBB157_11:                             ;   in Loop: Header=BB157_3 Depth=1
	s_or_b64 exec, exec, s[12:13]
	v_cmp_gt_u32_e64 s[12:13], s18, v16
	s_and_saveexec_b64 s[18:19], s[12:13]
	s_cbranch_execz .LBB157_13
.LBB157_12:                             ;   in Loop: Header=BB157_3 Depth=1
	global_load_ubyte v42, v[6:7], off offset:448
.LBB157_13:                             ;   in Loop: Header=BB157_3 Depth=1
	s_or_b64 exec, exec, s[18:19]
	s_waitcnt vmcnt(0)
	ds_write_b8 v17, v37 offset:2112
	ds_write_b8 v18, v43 offset:2112
	;; [unrolled: 1-line block ×8, first 2 shown]
	; wave barrier
	ds_read_b64 v[6:7], v25 offset:2112
	s_waitcnt lgkmcnt(0)
	v_lshlrev_b32_sdwa v36, v35, v6 dst_sel:DWORD dst_unused:UNUSED_PAD src0_sel:DWORD src1_sel:BYTE_0
	v_lshlrev_b32_sdwa v37, v35, v6 dst_sel:DWORD dst_unused:UNUSED_PAD src0_sel:DWORD src1_sel:BYTE_1
	v_lshlrev_b32_sdwa v38, v35, v6 dst_sel:DWORD dst_unused:UNUSED_PAD src0_sel:DWORD src1_sel:BYTE_2
	v_lshlrev_b32_sdwa v6, v35, v6 dst_sel:DWORD dst_unused:UNUSED_PAD src0_sel:DWORD src1_sel:BYTE_3
	v_lshlrev_b32_sdwa v39, v35, v7 dst_sel:DWORD dst_unused:UNUSED_PAD src0_sel:DWORD src1_sel:BYTE_0
	v_lshlrev_b32_sdwa v40, v35, v7 dst_sel:DWORD dst_unused:UNUSED_PAD src0_sel:DWORD src1_sel:BYTE_1
	v_lshlrev_b32_sdwa v41, v35, v7 dst_sel:DWORD dst_unused:UNUSED_PAD src0_sel:DWORD src1_sel:BYTE_2
	v_lshlrev_b32_sdwa v7, v35, v7 dst_sel:DWORD dst_unused:UNUSED_PAD src0_sel:DWORD src1_sel:BYTE_3
	global_load_dword v42, v36, s[16:17]
	global_load_dword v43, v37, s[16:17]
	;; [unrolled: 1-line block ×8, first 2 shown]
	s_barrier
	s_waitcnt vmcnt(7)
	v_mul_f32_e32 v6, v2, v42
	s_waitcnt vmcnt(6)
	v_mul_f32_e32 v7, v2, v43
	;; [unrolled: 2-line block ×8, first 2 shown]
	ds_write2_b32 v26, v6, v7 offset1:1
	ds_write2_b32 v26, v36, v37 offset0:2 offset1:3
	ds_write2_b32 v26, v38, v39 offset0:4 offset1:5
	;; [unrolled: 1-line block ×3, first 2 shown]
	; wave barrier
	ds_read_b32 v41, v28
	ds_read_b32 v40, v29
	;; [unrolled: 1-line block ×7, first 2 shown]
	v_lshl_add_u64 v[6:7], s[14:15], 2, v[0:1]
	s_and_saveexec_b64 s[18:19], vcc
	s_cbranch_execnz .LBB157_27
; %bb.14:                               ;   in Loop: Header=BB157_3 Depth=1
	s_or_b64 exec, exec, s[18:19]
	s_and_saveexec_b64 s[18:19], s[0:1]
	s_cbranch_execnz .LBB157_28
.LBB157_15:                             ;   in Loop: Header=BB157_3 Depth=1
	s_or_b64 exec, exec, s[18:19]
	s_and_saveexec_b64 s[0:1], s[2:3]
	s_cbranch_execnz .LBB157_29
.LBB157_16:                             ;   in Loop: Header=BB157_3 Depth=1
	s_or_b64 exec, exec, s[0:1]
	s_and_saveexec_b64 s[0:1], s[4:5]
	s_cbranch_execnz .LBB157_30
.LBB157_17:                             ;   in Loop: Header=BB157_3 Depth=1
	s_or_b64 exec, exec, s[0:1]
	s_and_saveexec_b64 s[0:1], s[6:7]
	s_cbranch_execnz .LBB157_31
.LBB157_18:                             ;   in Loop: Header=BB157_3 Depth=1
	s_or_b64 exec, exec, s[0:1]
	s_and_saveexec_b64 s[0:1], s[8:9]
	s_cbranch_execnz .LBB157_32
.LBB157_19:                             ;   in Loop: Header=BB157_3 Depth=1
	s_or_b64 exec, exec, s[0:1]
	s_and_saveexec_b64 s[0:1], s[10:11]
	s_cbranch_execnz .LBB157_33
.LBB157_20:                             ;   in Loop: Header=BB157_3 Depth=1
	s_or_b64 exec, exec, s[0:1]
	s_and_saveexec_b64 s[0:1], s[12:13]
	s_cbranch_execz .LBB157_2
	s_branch .LBB157_34
.LBB157_21:                             ;   in Loop: Header=BB157_3 Depth=1
	global_load_ubyte v43, v[6:7], off offset:64
	s_or_b64 exec, exec, s[2:3]
	v_cmp_gt_u32_e64 s[2:3], s18, v11
	s_and_saveexec_b64 s[4:5], s[2:3]
	s_cbranch_execz .LBB157_7
.LBB157_22:                             ;   in Loop: Header=BB157_3 Depth=1
	global_load_ubyte v36, v[6:7], off offset:128
	s_or_b64 exec, exec, s[4:5]
	v_cmp_gt_u32_e64 s[4:5], s18, v12
	s_and_saveexec_b64 s[6:7], s[4:5]
	s_cbranch_execz .LBB157_8
.LBB157_23:                             ;   in Loop: Header=BB157_3 Depth=1
	global_load_ubyte v38, v[6:7], off offset:192
	s_or_b64 exec, exec, s[6:7]
	v_cmp_gt_u32_e64 s[6:7], s18, v13
	s_and_saveexec_b64 s[8:9], s[6:7]
	s_cbranch_execz .LBB157_9
.LBB157_24:                             ;   in Loop: Header=BB157_3 Depth=1
	global_load_ubyte v39, v[6:7], off offset:256
	s_or_b64 exec, exec, s[8:9]
	v_cmp_gt_u32_e64 s[8:9], s18, v14
	s_and_saveexec_b64 s[10:11], s[8:9]
	s_cbranch_execz .LBB157_10
.LBB157_25:                             ;   in Loop: Header=BB157_3 Depth=1
	global_load_ubyte v40, v[6:7], off offset:320
	s_or_b64 exec, exec, s[10:11]
	v_cmp_gt_u32_e64 s[10:11], s18, v15
	s_and_saveexec_b64 s[12:13], s[10:11]
	s_cbranch_execz .LBB157_11
.LBB157_26:                             ;   in Loop: Header=BB157_3 Depth=1
	global_load_ubyte v41, v[6:7], off offset:384
	s_or_b64 exec, exec, s[12:13]
	v_cmp_gt_u32_e64 s[12:13], s18, v16
	s_and_saveexec_b64 s[18:19], s[12:13]
	s_cbranch_execnz .LBB157_12
	s_branch .LBB157_13
.LBB157_27:                             ;   in Loop: Header=BB157_3 Depth=1
	ds_read_b32 v42, v27
	s_waitcnt lgkmcnt(0)
	global_store_dword v[6:7], v42, off
	s_or_b64 exec, exec, s[18:19]
	s_and_saveexec_b64 s[18:19], s[0:1]
	s_cbranch_execz .LBB157_15
.LBB157_28:                             ;   in Loop: Header=BB157_3 Depth=1
	s_waitcnt lgkmcnt(6)
	global_store_dword v[6:7], v41, off offset:256
	s_or_b64 exec, exec, s[18:19]
	s_and_saveexec_b64 s[0:1], s[2:3]
	s_cbranch_execz .LBB157_16
.LBB157_29:                             ;   in Loop: Header=BB157_3 Depth=1
	s_waitcnt lgkmcnt(5)
	global_store_dword v[6:7], v40, off offset:512
	s_or_b64 exec, exec, s[0:1]
	s_and_saveexec_b64 s[0:1], s[4:5]
	s_cbranch_execz .LBB157_17
.LBB157_30:                             ;   in Loop: Header=BB157_3 Depth=1
	s_waitcnt lgkmcnt(4)
	global_store_dword v[6:7], v39, off offset:768
	s_or_b64 exec, exec, s[0:1]
	s_and_saveexec_b64 s[0:1], s[6:7]
	s_cbranch_execz .LBB157_18
.LBB157_31:                             ;   in Loop: Header=BB157_3 Depth=1
	s_waitcnt lgkmcnt(3)
	global_store_dword v[6:7], v38, off offset:1024
	s_or_b64 exec, exec, s[0:1]
	s_and_saveexec_b64 s[0:1], s[8:9]
	s_cbranch_execz .LBB157_19
.LBB157_32:                             ;   in Loop: Header=BB157_3 Depth=1
	s_waitcnt lgkmcnt(2)
	global_store_dword v[6:7], v37, off offset:1280
	s_or_b64 exec, exec, s[0:1]
	s_and_saveexec_b64 s[0:1], s[10:11]
	s_cbranch_execz .LBB157_20
.LBB157_33:                             ;   in Loop: Header=BB157_3 Depth=1
	s_waitcnt lgkmcnt(1)
	global_store_dword v[6:7], v36, off offset:1536
	s_or_b64 exec, exec, s[0:1]
	s_and_saveexec_b64 s[0:1], s[12:13]
	s_cbranch_execz .LBB157_2
.LBB157_34:                             ;   in Loop: Header=BB157_3 Depth=1
	s_waitcnt lgkmcnt(0)
	global_store_dword v[6:7], v2, off offset:1792
	s_branch .LBB157_2
.LBB157_35:
	s_endpgm
	.section	.rodata,"a",@progbits
	.p2align	6, 0x0
	.amdhsa_kernel _Z20kDequantizeBlockwiseIfLi512ELi64ELi8ELi0EEvPfPhS0_PT_ii
		.amdhsa_group_segment_fixed_size 2640
		.amdhsa_private_segment_fixed_size 0
		.amdhsa_kernarg_size 296
		.amdhsa_user_sgpr_count 2
		.amdhsa_user_sgpr_dispatch_ptr 0
		.amdhsa_user_sgpr_queue_ptr 0
		.amdhsa_user_sgpr_kernarg_segment_ptr 1
		.amdhsa_user_sgpr_dispatch_id 0
		.amdhsa_user_sgpr_kernarg_preload_length 0
		.amdhsa_user_sgpr_kernarg_preload_offset 0
		.amdhsa_user_sgpr_private_segment_size 0
		.amdhsa_uses_dynamic_stack 0
		.amdhsa_enable_private_segment 0
		.amdhsa_system_sgpr_workgroup_id_x 1
		.amdhsa_system_sgpr_workgroup_id_y 0
		.amdhsa_system_sgpr_workgroup_id_z 0
		.amdhsa_system_sgpr_workgroup_info 0
		.amdhsa_system_vgpr_workitem_id 0
		.amdhsa_next_free_vgpr 50
		.amdhsa_next_free_sgpr 26
		.amdhsa_accum_offset 52
		.amdhsa_reserve_vcc 1
		.amdhsa_float_round_mode_32 0
		.amdhsa_float_round_mode_16_64 0
		.amdhsa_float_denorm_mode_32 3
		.amdhsa_float_denorm_mode_16_64 3
		.amdhsa_dx10_clamp 1
		.amdhsa_ieee_mode 1
		.amdhsa_fp16_overflow 0
		.amdhsa_tg_split 0
		.amdhsa_exception_fp_ieee_invalid_op 0
		.amdhsa_exception_fp_denorm_src 0
		.amdhsa_exception_fp_ieee_div_zero 0
		.amdhsa_exception_fp_ieee_overflow 0
		.amdhsa_exception_fp_ieee_underflow 0
		.amdhsa_exception_fp_ieee_inexact 0
		.amdhsa_exception_int_div_zero 0
	.end_amdhsa_kernel
	.section	.text._Z20kDequantizeBlockwiseIfLi512ELi64ELi8ELi0EEvPfPhS0_PT_ii,"axG",@progbits,_Z20kDequantizeBlockwiseIfLi512ELi64ELi8ELi0EEvPfPhS0_PT_ii,comdat
.Lfunc_end157:
	.size	_Z20kDequantizeBlockwiseIfLi512ELi64ELi8ELi0EEvPfPhS0_PT_ii, .Lfunc_end157-_Z20kDequantizeBlockwiseIfLi512ELi64ELi8ELi0EEvPfPhS0_PT_ii
                                        ; -- End function
	.section	.AMDGPU.csdata,"",@progbits
; Kernel info:
; codeLenInByte = 1628
; NumSgprs: 32
; NumVgprs: 50
; NumAgprs: 0
; TotalNumVgprs: 50
; ScratchSize: 0
; MemoryBound: 0
; FloatMode: 240
; IeeeMode: 1
; LDSByteSize: 2640 bytes/workgroup (compile time only)
; SGPRBlocks: 3
; VGPRBlocks: 6
; NumSGPRsForWavesPerEU: 32
; NumVGPRsForWavesPerEU: 50
; AccumOffset: 52
; Occupancy: 8
; WaveLimiterHint : 0
; COMPUTE_PGM_RSRC2:SCRATCH_EN: 0
; COMPUTE_PGM_RSRC2:USER_SGPR: 2
; COMPUTE_PGM_RSRC2:TRAP_HANDLER: 0
; COMPUTE_PGM_RSRC2:TGID_X_EN: 1
; COMPUTE_PGM_RSRC2:TGID_Y_EN: 0
; COMPUTE_PGM_RSRC2:TGID_Z_EN: 0
; COMPUTE_PGM_RSRC2:TIDIG_COMP_CNT: 0
; COMPUTE_PGM_RSRC3_GFX90A:ACCUM_OFFSET: 12
; COMPUTE_PGM_RSRC3_GFX90A:TG_SPLIT: 0
	.section	.text._Z20kDequantizeBlockwiseIfLi512ELi64ELi8ELi2EEvPfPhS0_PT_ii,"axG",@progbits,_Z20kDequantizeBlockwiseIfLi512ELi64ELi8ELi2EEvPfPhS0_PT_ii,comdat
